;; amdgpu-corpus repo=ROCm/rocFFT kind=compiled arch=gfx1030 opt=O3
	.text
	.amdgcn_target "amdgcn-amd-amdhsa--gfx1030"
	.amdhsa_code_object_version 6
	.protected	fft_rtc_fwd_len507_factors_13_3_13_wgs_117_tpt_39_halfLds_sp_ip_CI_sbrr_dirReg ; -- Begin function fft_rtc_fwd_len507_factors_13_3_13_wgs_117_tpt_39_halfLds_sp_ip_CI_sbrr_dirReg
	.globl	fft_rtc_fwd_len507_factors_13_3_13_wgs_117_tpt_39_halfLds_sp_ip_CI_sbrr_dirReg
	.p2align	8
	.type	fft_rtc_fwd_len507_factors_13_3_13_wgs_117_tpt_39_halfLds_sp_ip_CI_sbrr_dirReg,@function
fft_rtc_fwd_len507_factors_13_3_13_wgs_117_tpt_39_halfLds_sp_ip_CI_sbrr_dirReg: ; @fft_rtc_fwd_len507_factors_13_3_13_wgs_117_tpt_39_halfLds_sp_ip_CI_sbrr_dirReg
; %bb.0:
	s_clause 0x1
	s_load_dwordx2 s[14:15], s[4:5], 0x18
	s_load_dwordx4 s[8:11], s[4:5], 0x0
	v_mul_u32_u24_e32 v1, 0x691, v0
	v_mov_b32_e32 v6, 0
	s_load_dwordx2 s[12:13], s[4:5], 0x50
	s_waitcnt lgkmcnt(0)
	s_load_dwordx2 s[2:3], s[14:15], 0x0
	v_lshrrev_b32_e32 v1, 16, v1
	v_cmp_lt_u64_e64 s0, s[10:11], 2
	v_mad_u64_u32 v[4:5], null, s6, 3, v[1:2]
	v_mov_b32_e32 v5, v6
	v_mov_b32_e32 v1, 0
	;; [unrolled: 1-line block ×3, first 2 shown]
	s_and_b32 vcc_lo, exec_lo, s0
	v_mov_b32_e32 v11, v5
	v_mov_b32_e32 v10, v4
	s_cbranch_vccnz .LBB0_8
; %bb.1:
	s_load_dwordx2 s[0:1], s[4:5], 0x10
	v_mov_b32_e32 v1, 0
	v_mov_b32_e32 v9, v5
	s_add_u32 s6, s14, 8
	v_mov_b32_e32 v2, 0
	v_mov_b32_e32 v8, v4
	s_addc_u32 s7, s15, 0
	s_mov_b64 s[18:19], 1
	s_waitcnt lgkmcnt(0)
	s_add_u32 s16, s0, 8
	s_addc_u32 s17, s1, 0
.LBB0_2:                                ; =>This Inner Loop Header: Depth=1
	s_load_dwordx2 s[20:21], s[16:17], 0x0
                                        ; implicit-def: $vgpr10_vgpr11
	s_mov_b32 s0, exec_lo
	s_waitcnt lgkmcnt(0)
	v_or_b32_e32 v7, s21, v9
	v_cmpx_ne_u64_e32 0, v[6:7]
	s_xor_b32 s1, exec_lo, s0
	s_cbranch_execz .LBB0_4
; %bb.3:                                ;   in Loop: Header=BB0_2 Depth=1
	v_cvt_f32_u32_e32 v3, s20
	v_cvt_f32_u32_e32 v5, s21
	s_sub_u32 s0, 0, s20
	s_subb_u32 s22, 0, s21
	v_fmac_f32_e32 v3, 0x4f800000, v5
	v_rcp_f32_e32 v3, v3
	v_mul_f32_e32 v3, 0x5f7ffffc, v3
	v_mul_f32_e32 v5, 0x2f800000, v3
	v_trunc_f32_e32 v5, v5
	v_fmac_f32_e32 v3, 0xcf800000, v5
	v_cvt_u32_f32_e32 v5, v5
	v_cvt_u32_f32_e32 v3, v3
	v_mul_lo_u32 v7, s0, v5
	v_mul_hi_u32 v10, s0, v3
	v_mul_lo_u32 v11, s22, v3
	v_add_nc_u32_e32 v7, v10, v7
	v_mul_lo_u32 v10, s0, v3
	v_add_nc_u32_e32 v7, v7, v11
	v_mul_hi_u32 v11, v3, v10
	v_mul_lo_u32 v12, v3, v7
	v_mul_hi_u32 v13, v3, v7
	v_mul_hi_u32 v14, v5, v10
	v_mul_lo_u32 v10, v5, v10
	v_mul_hi_u32 v15, v5, v7
	v_mul_lo_u32 v7, v5, v7
	v_add_co_u32 v11, vcc_lo, v11, v12
	v_add_co_ci_u32_e32 v12, vcc_lo, 0, v13, vcc_lo
	v_add_co_u32 v10, vcc_lo, v11, v10
	v_add_co_ci_u32_e32 v10, vcc_lo, v12, v14, vcc_lo
	v_add_co_ci_u32_e32 v11, vcc_lo, 0, v15, vcc_lo
	v_add_co_u32 v7, vcc_lo, v10, v7
	v_add_co_ci_u32_e32 v10, vcc_lo, 0, v11, vcc_lo
	v_add_co_u32 v3, vcc_lo, v3, v7
	v_add_co_ci_u32_e32 v5, vcc_lo, v5, v10, vcc_lo
	v_mul_hi_u32 v7, s0, v3
	v_mul_lo_u32 v11, s22, v3
	v_mul_lo_u32 v10, s0, v5
	v_add_nc_u32_e32 v7, v7, v10
	v_mul_lo_u32 v10, s0, v3
	v_add_nc_u32_e32 v7, v7, v11
	v_mul_hi_u32 v11, v3, v10
	v_mul_lo_u32 v12, v3, v7
	v_mul_hi_u32 v13, v3, v7
	v_mul_hi_u32 v14, v5, v10
	v_mul_lo_u32 v10, v5, v10
	v_mul_hi_u32 v15, v5, v7
	v_mul_lo_u32 v7, v5, v7
	v_add_co_u32 v11, vcc_lo, v11, v12
	v_add_co_ci_u32_e32 v12, vcc_lo, 0, v13, vcc_lo
	v_add_co_u32 v10, vcc_lo, v11, v10
	v_add_co_ci_u32_e32 v10, vcc_lo, v12, v14, vcc_lo
	v_add_co_ci_u32_e32 v11, vcc_lo, 0, v15, vcc_lo
	v_add_co_u32 v7, vcc_lo, v10, v7
	v_add_co_ci_u32_e32 v10, vcc_lo, 0, v11, vcc_lo
	v_add_co_u32 v3, vcc_lo, v3, v7
	v_add_co_ci_u32_e32 v5, vcc_lo, v5, v10, vcc_lo
	v_mul_hi_u32 v7, v8, v3
	v_mad_u64_u32 v[12:13], null, v9, v3, 0
	v_mad_u64_u32 v[10:11], null, v8, v5, 0
	v_mad_u64_u32 v[14:15], null, v9, v5, 0
	v_add_co_u32 v3, vcc_lo, v7, v10
	v_add_co_ci_u32_e32 v5, vcc_lo, 0, v11, vcc_lo
	v_add_co_u32 v3, vcc_lo, v3, v12
	v_add_co_ci_u32_e32 v3, vcc_lo, v5, v13, vcc_lo
	v_add_co_ci_u32_e32 v5, vcc_lo, 0, v15, vcc_lo
	v_add_co_u32 v3, vcc_lo, v3, v14
	v_add_co_ci_u32_e32 v5, vcc_lo, 0, v5, vcc_lo
	v_mul_lo_u32 v7, s21, v3
	v_mad_u64_u32 v[10:11], null, s20, v3, 0
	v_mul_lo_u32 v12, s20, v5
	v_sub_co_u32 v10, vcc_lo, v8, v10
	v_add3_u32 v7, v11, v12, v7
	v_sub_nc_u32_e32 v11, v9, v7
	v_subrev_co_ci_u32_e64 v11, s0, s21, v11, vcc_lo
	v_add_co_u32 v12, s0, v3, 2
	v_add_co_ci_u32_e64 v13, s0, 0, v5, s0
	v_sub_co_u32 v14, s0, v10, s20
	v_sub_co_ci_u32_e32 v7, vcc_lo, v9, v7, vcc_lo
	v_subrev_co_ci_u32_e64 v11, s0, 0, v11, s0
	v_cmp_le_u32_e32 vcc_lo, s20, v14
	v_cmp_eq_u32_e64 s0, s21, v7
	v_cndmask_b32_e64 v14, 0, -1, vcc_lo
	v_cmp_le_u32_e32 vcc_lo, s21, v11
	v_cndmask_b32_e64 v15, 0, -1, vcc_lo
	v_cmp_le_u32_e32 vcc_lo, s20, v10
	;; [unrolled: 2-line block ×3, first 2 shown]
	v_cndmask_b32_e64 v16, 0, -1, vcc_lo
	v_cmp_eq_u32_e32 vcc_lo, s21, v11
	v_cndmask_b32_e64 v7, v16, v10, s0
	v_cndmask_b32_e32 v11, v15, v14, vcc_lo
	v_add_co_u32 v14, vcc_lo, v3, 1
	v_add_co_ci_u32_e32 v15, vcc_lo, 0, v5, vcc_lo
	v_cmp_ne_u32_e32 vcc_lo, 0, v11
	v_cndmask_b32_e32 v10, v15, v13, vcc_lo
	v_cndmask_b32_e32 v12, v14, v12, vcc_lo
	v_cmp_ne_u32_e32 vcc_lo, 0, v7
	v_cndmask_b32_e32 v11, v5, v10, vcc_lo
	v_cndmask_b32_e32 v10, v3, v12, vcc_lo
.LBB0_4:                                ;   in Loop: Header=BB0_2 Depth=1
	s_andn2_saveexec_b32 s0, s1
	s_cbranch_execz .LBB0_6
; %bb.5:                                ;   in Loop: Header=BB0_2 Depth=1
	v_cvt_f32_u32_e32 v3, s20
	s_sub_i32 s1, 0, s20
	v_mov_b32_e32 v11, v6
	v_rcp_iflag_f32_e32 v3, v3
	v_mul_f32_e32 v3, 0x4f7ffffe, v3
	v_cvt_u32_f32_e32 v3, v3
	v_mul_lo_u32 v5, s1, v3
	v_mul_hi_u32 v5, v3, v5
	v_add_nc_u32_e32 v3, v3, v5
	v_mul_hi_u32 v3, v8, v3
	v_mul_lo_u32 v5, v3, s20
	v_add_nc_u32_e32 v7, 1, v3
	v_sub_nc_u32_e32 v5, v8, v5
	v_subrev_nc_u32_e32 v10, s20, v5
	v_cmp_le_u32_e32 vcc_lo, s20, v5
	v_cndmask_b32_e32 v5, v5, v10, vcc_lo
	v_cndmask_b32_e32 v3, v3, v7, vcc_lo
	v_cmp_le_u32_e32 vcc_lo, s20, v5
	v_add_nc_u32_e32 v7, 1, v3
	v_cndmask_b32_e32 v10, v3, v7, vcc_lo
.LBB0_6:                                ;   in Loop: Header=BB0_2 Depth=1
	s_or_b32 exec_lo, exec_lo, s0
	s_load_dwordx2 s[0:1], s[6:7], 0x0
	v_mul_lo_u32 v3, v11, s20
	v_mul_lo_u32 v5, v10, s21
	v_mad_u64_u32 v[12:13], null, v10, s20, 0
	s_add_u32 s18, s18, 1
	s_addc_u32 s19, s19, 0
	s_add_u32 s6, s6, 8
	s_addc_u32 s7, s7, 0
	s_add_u32 s16, s16, 8
	s_addc_u32 s17, s17, 0
	v_add3_u32 v3, v13, v5, v3
	v_sub_co_u32 v5, vcc_lo, v8, v12
	v_sub_co_ci_u32_e32 v3, vcc_lo, v9, v3, vcc_lo
	s_waitcnt lgkmcnt(0)
	v_mul_lo_u32 v7, s1, v5
	v_mul_lo_u32 v3, s0, v3
	v_mad_u64_u32 v[1:2], null, s0, v5, v[1:2]
	v_cmp_ge_u64_e64 s0, s[18:19], s[10:11]
	s_and_b32 vcc_lo, exec_lo, s0
	v_add3_u32 v2, v7, v2, v3
	s_cbranch_vccnz .LBB0_8
; %bb.7:                                ;   in Loop: Header=BB0_2 Depth=1
	v_mov_b32_e32 v8, v10
	v_mov_b32_e32 v9, v11
	s_branch .LBB0_2
.LBB0_8:
	s_lshl_b64 s[0:1], s[10:11], 3
	v_mul_hi_u32 v3, 0x6906907, v0
	s_add_u32 s0, s14, s0
	s_addc_u32 s1, s15, s1
	s_load_dwordx2 s[4:5], s[4:5], 0x20
	s_load_dwordx2 s[0:1], s[0:1], 0x0
                                        ; implicit-def: $sgpr6
	v_mul_u32_u24_e32 v3, 39, v3
	v_sub_nc_u32_e32 v40, v0, v3
	v_add_nc_u32_e32 v44, 39, v40
	v_add_nc_u32_e32 v43, 0x4e, v40
	v_add_nc_u32_e32 v41, 0x75, v40
	v_add_nc_u32_e32 v42, 0x9c, v40
	s_waitcnt lgkmcnt(0)
	v_cmp_gt_u64_e32 vcc_lo, s[4:5], v[10:11]
	v_mul_lo_u32 v3, s0, v11
	v_mul_lo_u32 v5, s1, v10
	v_mad_u64_u32 v[0:1], null, s0, v10, v[1:2]
	v_cmp_le_u64_e64 s0, s[4:5], v[10:11]
                                        ; implicit-def: $sgpr4_sgpr5
	v_add3_u32 v1, v5, v1, v3
	s_and_saveexec_b32 s1, s0
	s_xor_b32 s0, exec_lo, s1
; %bb.9:
	v_add_nc_u32_e32 v44, 39, v40
	v_add_nc_u32_e32 v43, 0x4e, v40
	;; [unrolled: 1-line block ×4, first 2 shown]
	s_mov_b32 s6, 0
	s_mov_b64 s[4:5], 0
; %bb.10:
	s_or_saveexec_b32 s1, s0
	v_lshlrev_b64 v[0:1], 3, v[0:1]
	v_mov_b32_e32 v10, s5
	v_mov_b32_e32 v39, s6
	;; [unrolled: 1-line block ×3, first 2 shown]
                                        ; implicit-def: $vgpr22
                                        ; implicit-def: $vgpr20
                                        ; implicit-def: $vgpr12
                                        ; implicit-def: $vgpr16
                                        ; implicit-def: $vgpr8
                                        ; implicit-def: $vgpr3
                                        ; implicit-def: $vgpr36
                                        ; implicit-def: $vgpr38
                                        ; implicit-def: $vgpr24
                                        ; implicit-def: $vgpr18
                                        ; implicit-def: $vgpr14
                                        ; implicit-def: $vgpr6
	s_xor_b32 exec_lo, exec_lo, s1
	s_cbranch_execz .LBB0_12
; %bb.11:
	v_mad_u64_u32 v[2:3], null, s2, v40, 0
	v_mad_u64_u32 v[5:6], null, s2, v44, 0
	;; [unrolled: 1-line block ×5, first 2 shown]
	v_add_co_u32 v37, s0, s12, v0
	v_mad_u64_u32 v[12:13], null, s3, v44, v[6:7]
	v_mad_u64_u32 v[13:14], null, s3, v43, v[8:9]
	v_mov_b32_e32 v3, v11
	v_mad_u64_u32 v[10:11], null, s3, v41, v[10:11]
	v_mad_u64_u32 v[14:15], null, s2, v42, 0
	v_mov_b32_e32 v6, v12
	v_lshlrev_b64 v[2:3], 3, v[2:3]
	v_mov_b32_e32 v8, v13
	v_add_nc_u32_e32 v18, 0xc3, v40
	v_add_co_ci_u32_e64 v38, s0, s13, v1, s0
	v_lshlrev_b64 v[5:6], 3, v[5:6]
	v_add_co_u32 v2, s0, v37, v2
	v_lshlrev_b64 v[7:8], 3, v[7:8]
	v_mad_u64_u32 v[16:17], null, s2, v18, 0
	v_add_co_ci_u32_e64 v3, s0, v38, v3, s0
	v_add_co_u32 v5, s0, v37, v5
	v_mov_b32_e32 v11, v15
	v_lshlrev_b64 v[9:10], 3, v[9:10]
	v_add_co_ci_u32_e64 v6, s0, v38, v6, s0
	v_add_co_u32 v7, s0, v37, v7
	v_mad_u64_u32 v[11:12], null, s3, v42, v[11:12]
	v_add_co_ci_u32_e64 v8, s0, v38, v8, s0
	v_add_co_u32 v12, s0, v37, v9
	v_mov_b32_e32 v9, v17
	v_add_nc_u32_e32 v25, 0xea, v40
	v_add_co_ci_u32_e64 v13, s0, v38, v10, s0
	v_mov_b32_e32 v15, v11
	v_mad_u64_u32 v[17:18], null, s3, v18, v[9:10]
	v_mad_u64_u32 v[23:24], null, s2, v25, 0
	v_add_nc_u32_e32 v18, 0x111, v40
	s_clause 0x3
	global_load_dwordx2 v[9:10], v[2:3], off
	global_load_dwordx2 v[21:22], v[5:6], off
	;; [unrolled: 1-line block ×4, first 2 shown]
	v_lshlrev_b64 v[2:3], 3, v[14:15]
	v_add_nc_u32_e32 v34, 0x186, v40
	v_add_nc_u32_e32 v39, 0x1ad, v40
	v_mad_u64_u32 v[6:7], null, s2, v18, 0
	v_mov_b32_e32 v5, v24
	v_add_co_u32 v2, s0, v37, v2
	v_add_co_ci_u32_e64 v3, s0, v38, v3, s0
	v_mad_u64_u32 v[27:28], null, s2, v34, 0
	v_mad_u64_u32 v[13:14], null, s3, v25, v[5:6]
	v_mov_b32_e32 v5, v7
	v_lshlrev_b64 v[7:8], 3, v[16:17]
	v_add_nc_u32_e32 v16, 0x138, v40
	v_add_nc_u32_e32 v45, 0x1d4, v40
	v_mov_b32_e32 v24, v13
	v_mad_u64_u32 v[13:14], null, s3, v18, v[5:6]
	v_add_co_u32 v25, s0, v37, v7
	v_mad_u64_u32 v[17:18], null, s2, v16, 0
	v_add_co_ci_u32_e64 v26, s0, v38, v8, s0
	v_add_nc_u32_e32 v8, 0x15f, v40
	v_mov_b32_e32 v7, v13
	v_lshlrev_b64 v[14:15], 3, v[23:24]
	v_mov_b32_e32 v5, v18
	v_mad_u64_u32 v[23:24], null, s2, v8, 0
	v_lshlrev_b64 v[6:7], 3, v[6:7]
	v_add_co_u32 v13, s0, v37, v14
	v_add_co_ci_u32_e64 v14, s0, v38, v15, s0
	v_mad_u64_u32 v[15:16], null, s3, v16, v[5:6]
	v_mov_b32_e32 v5, v24
	v_add_co_u32 v29, s0, v37, v6
	v_add_co_ci_u32_e64 v30, s0, v38, v7, s0
	v_mad_u64_u32 v[31:32], null, s3, v8, v[5:6]
	v_mov_b32_e32 v5, v28
	v_mov_b32_e32 v18, v15
	v_mad_u64_u32 v[32:33], null, s2, v39, 0
	v_mad_u64_u32 v[34:35], null, s3, v34, v[5:6]
	s_clause 0x3
	global_load_dwordx2 v[15:16], v[2:3], off
	global_load_dwordx2 v[7:8], v[25:26], off
	;; [unrolled: 1-line block ×4, first 2 shown]
	v_mad_u64_u32 v[35:36], null, s2, v45, 0
	v_mov_b32_e32 v13, v33
	v_mov_b32_e32 v24, v31
	v_lshlrev_b64 v[17:18], 3, v[17:18]
	v_mov_b32_e32 v28, v34
	v_mad_u64_u32 v[13:14], null, s3, v39, v[13:14]
	v_mov_b32_e32 v14, v36
	v_lshlrev_b64 v[23:24], 3, v[23:24]
	v_add_co_u32 v17, s0, v37, v17
	v_add_co_ci_u32_e64 v18, s0, v38, v18, s0
	v_mov_b32_e32 v33, v13
	v_add_co_u32 v23, s0, v37, v23
	v_add_co_ci_u32_e64 v24, s0, v38, v24, s0
	v_mov_b32_e32 v39, v40
	s_waitcnt vmcnt(3)
	v_mad_u64_u32 v[25:26], null, s3, v45, v[14:15]
	v_lshlrev_b64 v[26:27], 3, v[27:28]
	v_lshlrev_b64 v[13:14], 3, v[32:33]
	v_mov_b32_e32 v36, v25
	v_add_co_u32 v25, s0, v37, v26
	v_add_co_ci_u32_e64 v26, s0, v38, v27, s0
	v_lshlrev_b64 v[27:28], 3, v[35:36]
	v_add_co_u32 v29, s0, v37, v13
	v_add_co_ci_u32_e64 v30, s0, v38, v14, s0
	v_add_co_u32 v27, s0, v37, v27
	v_add_co_ci_u32_e64 v28, s0, v38, v28, s0
	s_clause 0x4
	global_load_dwordx2 v[13:14], v[17:18], off
	global_load_dwordx2 v[17:18], v[23:24], off
	;; [unrolled: 1-line block ×5, first 2 shown]
.LBB0_12:
	s_or_b32 exec_lo, exec_lo, s1
	v_mul_hi_u32 v26, 0xaaaaaaab, v4
	s_waitcnt vmcnt(0)
	v_add_f32_e32 v27, v21, v35
	v_sub_f32_e32 v28, v22, v36
	v_add_f32_e32 v29, v19, v37
	v_sub_f32_e32 v30, v20, v38
	v_add_f32_e32 v25, v21, v9
	v_mul_f32_e32 v31, 0x3f62ad3f, v27
	v_mul_f32_e32 v32, 0x3f116cb1, v27
	v_lshrrev_b32_e32 v26, 1, v26
	v_mul_f32_e32 v33, 0x3df6dbef, v27
	v_mul_f32_e32 v34, 0xbeb58ec6, v27
	;; [unrolled: 1-line block ×5, first 2 shown]
	v_fmamk_f32 v48, v28, 0x3eedf032, v31
	v_fmac_f32_e32 v31, 0xbeedf032, v28
	v_lshl_add_u32 v26, v26, 1, v26
	v_mul_f32_e32 v47, 0xbeb58ec6, v29
	v_fmamk_f32 v49, v28, 0x3f52af12, v32
	v_fmac_f32_e32 v32, 0xbf52af12, v28
	v_fmamk_f32 v50, v28, 0x3f7e222b, v33
	v_fmac_f32_e32 v33, 0xbf7e222b, v28
	;; [unrolled: 2-line block ×6, first 2 shown]
	v_add_f32_e32 v31, v31, v9
	v_sub_nc_u32_e32 v4, v4, v26
	v_add_f32_e32 v48, v48, v9
	v_add_f32_e32 v32, v32, v9
	;; [unrolled: 1-line block ×4, first 2 shown]
	v_mul_u32_u24_e32 v59, 0x1fb, v4
	v_fmamk_f32 v4, v30, 0x3f6f5d39, v47
	v_fmac_f32_e32 v47, 0xbf6f5d39, v30
	v_mul_f32_e32 v46, 0xbf3f9e67, v29
	v_add_f32_e32 v50, v50, v9
	v_add_f32_e32 v33, v33, v9
	;; [unrolled: 1-line block ×9, first 2 shown]
	v_mul_f32_e32 v28, 0xbf788fa5, v29
	v_add_f32_e32 v32, v47, v32
	v_fmamk_f32 v47, v30, 0xbf29c268, v46
	v_fmac_f32_e32 v46, 0x3f29c268, v30
	v_add_f32_e32 v4, v4, v49
	v_fmamk_f32 v48, v30, 0x3e750f2a, v28
	v_fmac_f32_e32 v28, 0xbe750f2a, v30
	v_mul_f32_e32 v49, 0x3df6dbef, v29
	v_add_f32_e32 v34, v46, v34
	v_add_f32_e32 v46, v11, v23
	;; [unrolled: 1-line block ×5, first 2 shown]
	v_fmamk_f32 v47, v30, 0xbf7e222b, v49
	v_mul_f32_e32 v29, 0x3f62ad3f, v29
	v_fmac_f32_e32 v49, 0x3f7e222b, v30
	v_sub_f32_e32 v50, v12, v24
	v_mul_f32_e32 v51, 0x3df6dbef, v46
	v_add_f32_e32 v47, v47, v52
	v_fmamk_f32 v52, v30, 0xbeedf032, v29
	v_fmac_f32_e32 v29, 0x3eedf032, v30
	v_add_f32_e32 v30, v49, v45
	v_fmamk_f32 v45, v50, 0x3f7e222b, v51
	v_mul_f32_e32 v49, 0xbf788fa5, v46
	v_fmac_f32_e32 v51, 0xbf7e222b, v50
	v_add_f32_e32 v9, v29, v9
	v_add_f32_e32 v26, v52, v26
	;; [unrolled: 1-line block ×3, first 2 shown]
	v_fmamk_f32 v29, v50, 0x3e750f2a, v49
	v_mul_f32_e32 v45, 0xbeb58ec6, v46
	v_fmac_f32_e32 v49, 0xbe750f2a, v50
	v_add_f32_e32 v31, v51, v31
	v_mul_f32_e32 v51, 0x3f62ad3f, v46
	v_add_f32_e32 v4, v29, v4
	v_fmamk_f32 v29, v50, 0xbf6f5d39, v45
	v_fmac_f32_e32 v45, 0x3f6f5d39, v50
	v_add_f32_e32 v32, v49, v32
	v_fmamk_f32 v49, v50, 0xbeedf032, v51
	v_fmac_f32_e32 v51, 0x3eedf032, v50
	v_add_f32_e32 v29, v29, v48
	v_mul_f32_e32 v48, 0x3f116cb1, v46
	v_add_f32_e32 v28, v45, v28
	v_add_f32_e32 v45, v15, v17
	;; [unrolled: 1-line block ×4, first 2 shown]
	v_fmamk_f32 v49, v50, 0x3f52af12, v48
	v_mul_f32_e32 v46, 0xbf3f9e67, v46
	v_fmac_f32_e32 v48, 0xbf52af12, v50
	v_sub_f32_e32 v51, v16, v18
	v_mul_f32_e32 v52, 0xbeb58ec6, v45
	v_add_f32_e32 v47, v49, v47
	v_fmamk_f32 v49, v50, 0x3f29c268, v46
	v_add_f32_e32 v30, v48, v30
	v_fmac_f32_e32 v46, 0xbf29c268, v50
	v_fmamk_f32 v48, v51, 0x3f6f5d39, v52
	v_mul_f32_e32 v50, 0xbf3f9e67, v45
	v_add_f32_e32 v26, v49, v26
	v_mul_f32_e32 v49, 0x3df6dbef, v45
	v_add_f32_e32 v9, v46, v9
	v_add_f32_e32 v27, v48, v27
	v_fmamk_f32 v46, v51, 0xbf29c268, v50
	v_mul_f32_e32 v48, 0x3f62ad3f, v45
	v_fmac_f32_e32 v50, 0x3f29c268, v51
	v_fmac_f32_e32 v52, 0xbf6f5d39, v51
	v_add_f32_e32 v25, v19, v25
	v_add_f32_e32 v4, v46, v4
	v_fmamk_f32 v46, v51, 0xbeedf032, v48
	v_fmac_f32_e32 v48, 0x3eedf032, v51
	v_add_f32_e32 v32, v50, v32
	v_fmamk_f32 v50, v51, 0x3f7e222b, v49
	v_fmac_f32_e32 v49, 0xbf7e222b, v51
	v_add_f32_e32 v29, v46, v29
	v_add_f32_e32 v28, v48, v28
	v_mul_f32_e32 v46, 0xbf788fa5, v45
	v_add_f32_e32 v48, v7, v13
	v_add_f32_e32 v31, v52, v31
	;; [unrolled: 1-line block ×4, first 2 shown]
	v_mul_f32_e32 v45, 0x3f116cb1, v45
	v_fmamk_f32 v49, v51, 0xbe750f2a, v46
	v_fmac_f32_e32 v46, 0x3e750f2a, v51
	v_sub_f32_e32 v50, v8, v14
	v_mul_f32_e32 v52, 0xbf3f9e67, v48
	v_add_f32_e32 v25, v11, v25
	v_fmamk_f32 v53, v51, 0xbf52af12, v45
	v_add_f32_e32 v47, v49, v47
	v_add_f32_e32 v30, v46, v30
	v_fmac_f32_e32 v45, 0x3f52af12, v51
	v_fmamk_f32 v46, v50, 0x3f29c268, v52
	v_mul_f32_e32 v49, 0x3df6dbef, v48
	v_add_f32_e32 v25, v15, v25
	v_fmac_f32_e32 v52, 0xbf29c268, v50
	v_add_f32_e32 v9, v45, v9
	v_add_f32_e32 v27, v46, v27
	v_mul_f32_e32 v45, 0x3f116cb1, v48
	v_fmamk_f32 v46, v50, 0xbf7e222b, v49
	v_mul_f32_e32 v51, 0xbf788fa5, v48
	v_add_f32_e32 v25, v7, v25
	v_add_f32_e32 v31, v52, v31
	v_fmamk_f32 v52, v50, 0x3f52af12, v45
	v_add_f32_e32 v4, v46, v4
	v_fmac_f32_e32 v45, 0xbf52af12, v50
	v_fmamk_f32 v46, v50, 0xbe750f2a, v51
	v_add_f32_e32 v25, v2, v25
	v_fmac_f32_e32 v49, 0x3f7e222b, v50
	v_fmac_f32_e32 v51, 0x3e750f2a, v50
	v_add_f32_e32 v28, v45, v28
	v_mul_f32_e32 v45, 0x3f62ad3f, v48
	v_add_f32_e32 v33, v46, v33
	v_mul_f32_e32 v46, 0xbeb58ec6, v48
	v_add_f32_e32 v48, v2, v5
	v_add_f32_e32 v25, v5, v25
	;; [unrolled: 1-line block ×5, first 2 shown]
	v_fmamk_f32 v49, v50, 0xbeedf032, v45
	v_fmac_f32_e32 v45, 0x3eedf032, v50
	v_sub_f32_e32 v52, v3, v6
	v_mul_f32_e32 v53, 0xbf788fa5, v48
	v_add_f32_e32 v34, v51, v34
	v_fmamk_f32 v51, v50, 0x3f6f5d39, v46
	v_fmac_f32_e32 v46, 0xbf6f5d39, v50
	v_add_f32_e32 v25, v13, v25
	v_add_f32_e32 v47, v49, v47
	;; [unrolled: 1-line block ×3, first 2 shown]
	v_fmamk_f32 v45, v52, 0x3e750f2a, v53
	v_mul_f32_e32 v49, 0x3f62ad3f, v48
	v_fmac_f32_e32 v53, 0xbe750f2a, v52
	v_add_f32_e32 v9, v46, v9
	v_mul_f32_e32 v46, 0xbf3f9e67, v48
	v_add_f32_e32 v25, v17, v25
	v_add_f32_e32 v27, v45, v27
	v_fmamk_f32 v45, v52, 0xbeedf032, v49
	v_mul_f32_e32 v50, 0x3f116cb1, v48
	v_add_f32_e32 v26, v51, v26
	v_add_f32_e32 v51, v53, v31
	v_fmamk_f32 v31, v52, 0x3f29c268, v46
	v_fmac_f32_e32 v46, 0xbf29c268, v52
	v_add_f32_e32 v25, v23, v25
	v_add_f32_e32 v45, v45, v4
	v_fmamk_f32 v4, v52, 0xbf52af12, v50
	v_fmac_f32_e32 v50, 0x3f52af12, v52
	v_add_f32_e32 v29, v31, v29
	v_mul_f32_e32 v31, 0xbeb58ec6, v48
	v_fmac_f32_e32 v49, 0x3eedf032, v52
	v_add_f32_e32 v28, v46, v28
	v_mul_f32_e32 v46, 0x3df6dbef, v48
	v_add_f32_e32 v25, v37, v25
	v_add_f32_e32 v34, v50, v34
	v_lshl_add_u32 v50, v59, 2, 0
	v_fmamk_f32 v48, v52, 0x3f6f5d39, v31
	v_add_f32_e32 v32, v49, v32
	v_fmamk_f32 v49, v52, 0xbf7e222b, v46
	v_fmac_f32_e32 v46, 0x3f7e222b, v52
	v_fmac_f32_e32 v31, 0xbf6f5d39, v52
	v_add_f32_e32 v25, v35, v25
	v_add_f32_e32 v33, v4, v33
	v_mad_u32_u24 v4, v40, 52, v50
	v_add_f32_e32 v47, v48, v47
	v_add_f32_e32 v26, v49, v26
	;; [unrolled: 1-line block ×4, first 2 shown]
	ds_write2_b32 v4, v25, v27 offset1:1
	ds_write2_b32 v4, v45, v29 offset0:2 offset1:3
	ds_write2_b32 v4, v33, v47 offset0:4 offset1:5
	;; [unrolled: 1-line block ×4, first 2 shown]
	v_mad_i32_i24 v45, 0xffffffd0, v40, v4
	v_lshl_add_u32 v46, v40, 2, v50
	v_lshl_add_u32 v49, v44, 2, v50
	;; [unrolled: 1-line block ×4, first 2 shown]
	v_add_nc_u32_e32 v57, 0x400, v45
	v_add_nc_u32_e32 v58, 0x200, v45
	ds_write2_b32 v4, v28, v32 offset0:10 offset1:11
	ds_write_b32 v4, v51 offset:48
	s_waitcnt lgkmcnt(0)
	s_barrier
	buffer_gl0_inv
	ds_read2_b32 v[31:32], v45 offset0:169 offset1:208
	ds_read2_b32 v[29:30], v57 offset0:82 offset1:121
	;; [unrolled: 1-line block ×4, first 2 shown]
	ds_read_b32 v56, v46
	ds_read_b32 v55, v49
	;; [unrolled: 1-line block ×4, first 2 shown]
	v_cmp_gt_u32_e64 s0, 13, v40
	v_lshlrev_b32_e32 v52, 2, v42
	v_lshlrev_b32_e32 v50, 2, v59
                                        ; implicit-def: $vgpr34
	s_and_saveexec_b32 s1, s0
	s_cbranch_execz .LBB0_14
; %bb.13:
	v_add3_u32 v9, 0, v52, v50
	ds_read_b32 v51, v9
	ds_read2_b32 v[33:34], v57 offset0:69 offset1:238
.LBB0_14:
	s_or_b32 exec_lo, exec_lo, s1
	v_add_f32_e32 v9, v22, v10
	v_sub_f32_e32 v21, v21, v35
	v_add_f32_e32 v22, v22, v36
	v_add_f32_e32 v35, v20, v38
	v_sub_f32_e32 v19, v19, v37
	v_add_f32_e32 v9, v20, v9
	v_mul_f32_e32 v20, 0xbeedf032, v21
	v_mul_f32_e32 v37, 0xbf52af12, v21
	;; [unrolled: 1-line block ×4, first 2 shown]
	v_add_f32_e32 v9, v12, v9
	v_mul_f32_e32 v61, 0xbf29c268, v21
	v_mul_f32_e32 v21, 0xbe750f2a, v21
	;; [unrolled: 1-line block ×4, first 2 shown]
	v_add_f32_e32 v9, v16, v9
	v_fmamk_f32 v66, v22, 0x3f62ad3f, v20
	v_fma_f32 v20, 0x3f62ad3f, v22, -v20
	v_fmamk_f32 v67, v22, 0x3f116cb1, v37
	v_fma_f32 v37, 0x3f116cb1, v22, -v37
	v_add_f32_e32 v9, v8, v9
	v_mul_f32_e32 v64, 0xbe750f2a, v19
	v_mul_f32_e32 v65, 0x3f29c268, v19
	v_fmamk_f32 v68, v22, 0x3df6dbef, v59
	v_fma_f32 v59, 0x3df6dbef, v22, -v59
	v_add_f32_e32 v9, v3, v9
	v_fmamk_f32 v69, v22, 0xbeb58ec6, v60
	v_fma_f32 v60, 0xbeb58ec6, v22, -v60
	v_fmamk_f32 v70, v22, 0xbf3f9e67, v61
	v_fma_f32 v61, 0xbf3f9e67, v22, -v61
	v_add_f32_e32 v9, v6, v9
	v_fmamk_f32 v71, v22, 0xbf788fa5, v21
	v_fma_f32 v21, 0xbf788fa5, v22, -v21
	;; [unrolled: 5-line block ×3, first 2 shown]
	v_add_f32_e32 v20, v20, v10
	v_add_f32_e32 v37, v37, v10
	;; [unrolled: 1-line block ×8, first 2 shown]
	v_fma_f32 v62, 0xbf788fa5, v35, -v64
	v_fmamk_f32 v63, v35, 0xbf3f9e67, v65
	v_sub_f32_e32 v11, v11, v23
	v_add_f32_e32 v66, v66, v10
	v_add_f32_e32 v9, v38, v9
	;; [unrolled: 1-line block ×7, first 2 shown]
	v_fmamk_f32 v36, v35, 0xbf788fa5, v64
	v_fma_f32 v64, 0xbf3f9e67, v35, -v65
	v_mul_f32_e32 v65, 0x3f7e222b, v19
	v_mul_f32_e32 v19, 0x3eedf032, v19
	v_add_f32_e32 v12, v12, v24
	v_mul_f32_e32 v24, 0xbf7e222b, v11
	v_add_f32_e32 v67, v67, v10
	v_fma_f32 v63, 0x3df6dbef, v35, -v65
	v_add_f32_e32 v68, v68, v10
	v_add_f32_e32 v70, v70, v10
	;; [unrolled: 1-line block ×6, first 2 shown]
	v_fmamk_f32 v23, v35, 0x3df6dbef, v65
	v_fmamk_f32 v64, v35, 0x3f62ad3f, v19
	v_fma_f32 v19, 0x3f62ad3f, v35, -v19
	v_add_f32_e32 v35, v63, v61
	v_fmamk_f32 v61, v12, 0x3df6dbef, v24
	v_mul_f32_e32 v63, 0xbe750f2a, v11
	v_add_f32_e32 v22, v72, v67
	v_add_f32_e32 v10, v19, v10
	v_fma_f32 v19, 0x3df6dbef, v12, -v24
	v_add_f32_e32 v21, v61, v21
	v_fmamk_f32 v24, v12, 0xbf788fa5, v63
	v_mul_f32_e32 v61, 0x3f6f5d39, v11
	v_add_f32_e32 v36, v36, v68
	v_sub_f32_e32 v15, v15, v17
	v_add_f32_e32 v23, v23, v70
	v_add_f32_e32 v22, v24, v22
	v_fmamk_f32 v24, v12, 0xbeb58ec6, v61
	v_fma_f32 v63, 0xbf788fa5, v12, -v63
	v_add_f32_e32 v19, v19, v20
	v_mul_f32_e32 v20, 0x3eedf032, v11
	v_add_f32_e32 v16, v16, v18
	v_add_f32_e32 v24, v24, v36
	v_mul_f32_e32 v36, 0xbf52af12, v11
	v_mul_f32_e32 v11, 0xbf29c268, v11
	;; [unrolled: 1-line block ×3, first 2 shown]
	v_add_f32_e32 v37, v63, v37
	v_fma_f32 v61, 0xbeb58ec6, v12, -v61
	v_fmamk_f32 v17, v12, 0x3f116cb1, v36
	v_fma_f32 v36, 0x3f116cb1, v12, -v36
	v_fmamk_f32 v63, v12, 0x3f62ad3f, v20
	v_fma_f32 v20, 0x3f62ad3f, v12, -v20
	v_sub_f32_e32 v7, v7, v13
	v_add_f32_e32 v17, v17, v23
	v_fmamk_f32 v23, v12, 0xbf3f9e67, v11
	v_fma_f32 v11, 0xbf3f9e67, v12, -v11
	v_add_f32_e32 v12, v36, v35
	v_fmamk_f32 v35, v16, 0xbeb58ec6, v18
	v_mul_f32_e32 v36, 0x3f29c268, v15
	v_add_f32_e32 v20, v20, v60
	v_add_f32_e32 v10, v11, v10
	v_fma_f32 v11, 0xbeb58ec6, v16, -v18
	v_add_f32_e32 v18, v35, v21
	v_fmamk_f32 v21, v16, 0xbf3f9e67, v36
	v_mul_f32_e32 v35, 0x3eedf032, v15
	v_fma_f32 v36, 0xbf3f9e67, v16, -v36
	v_add_f32_e32 v11, v11, v19
	v_mul_f32_e32 v19, 0xbf7e222b, v15
	v_add_f32_e32 v21, v21, v22
	v_fmamk_f32 v22, v16, 0x3f62ad3f, v35
	v_add_f32_e32 v36, v36, v37
	v_add_f32_e32 v8, v8, v14
	v_fmamk_f32 v37, v16, 0x3df6dbef, v19
	v_fma_f32 v19, 0x3df6dbef, v16, -v19
	v_add_f32_e32 v22, v22, v24
	v_mul_f32_e32 v24, 0x3e750f2a, v15
	v_mul_f32_e32 v15, 0x3f52af12, v15
	;; [unrolled: 1-line block ×3, first 2 shown]
	v_add_f32_e32 v19, v19, v20
	v_fma_f32 v35, 0x3f62ad3f, v16, -v35
	v_fmamk_f32 v13, v16, 0xbf788fa5, v24
	v_fma_f32 v20, 0xbf788fa5, v16, -v24
	v_add_f32_e32 v38, v64, v38
	v_sub_f32_e32 v2, v2, v5
	v_mul_f32_e32 v5, 0xbf6f5d39, v7
	v_add_f32_e32 v13, v13, v17
	v_fmamk_f32 v17, v16, 0x3f116cb1, v15
	v_add_f32_e32 v12, v20, v12
	v_fma_f32 v15, 0x3f116cb1, v16, -v15
	v_fmamk_f32 v16, v8, 0xbf3f9e67, v14
	v_mul_f32_e32 v20, 0x3f7e222b, v7
	v_fma_f32 v14, 0xbf3f9e67, v8, -v14
	v_add_f32_e32 v23, v23, v38
	v_add_f32_e32 v10, v15, v10
	;; [unrolled: 1-line block ×3, first 2 shown]
	v_fmamk_f32 v16, v8, 0x3df6dbef, v20
	v_mul_f32_e32 v18, 0xbf52af12, v7
	v_add_f32_e32 v11, v14, v11
	v_fma_f32 v14, 0x3df6dbef, v8, -v20
	v_mul_f32_e32 v20, 0x3e750f2a, v7
	v_add_f32_e32 v16, v16, v21
	v_fmamk_f32 v21, v8, 0x3f116cb1, v18
	v_add_f32_e32 v17, v17, v23
	v_add_f32_e32 v3, v3, v6
	v_fmamk_f32 v23, v8, 0xbf788fa5, v20
	v_fma_f32 v20, 0xbf788fa5, v8, -v20
	v_add_f32_e32 v21, v21, v22
	v_mul_f32_e32 v22, 0x3eedf032, v7
	v_mul_f32_e32 v6, 0xbe750f2a, v2
	v_add_f32_e32 v59, v61, v59
	v_add_f32_e32 v19, v20, v19
	v_fma_f32 v18, 0x3f116cb1, v8, -v18
	v_fmamk_f32 v7, v8, 0x3f62ad3f, v22
	v_fma_f32 v20, 0x3f62ad3f, v8, -v22
	v_fmamk_f32 v22, v8, 0xbeb58ec6, v5
	;; [unrolled: 2-line block ×3, first 2 shown]
	v_add_f32_e32 v7, v7, v13
	v_add_f32_e32 v13, v20, v12
	v_mul_f32_e32 v20, 0x3eedf032, v2
	v_fma_f32 v6, 0xbf788fa5, v3, -v6
	v_add_f32_e32 v5, v5, v10
	v_mul_f32_e32 v10, 0xbf29c268, v2
	v_add_f32_e32 v61, v63, v62
	v_add_f32_e32 v35, v35, v59
	;; [unrolled: 1-line block ×3, first 2 shown]
	v_fmamk_f32 v15, v3, 0x3f62ad3f, v20
	v_add_f32_e32 v12, v6, v11
	v_fma_f32 v6, 0x3f62ad3f, v3, -v20
	v_fmamk_f32 v20, v3, 0xbf3f9e67, v10
	v_add_f32_e32 v37, v37, v61
	v_add_f32_e32 v14, v14, v36
	;; [unrolled: 1-line block ×3, first 2 shown]
	v_mul_f32_e32 v11, 0x3f52af12, v2
	v_add_f32_e32 v15, v15, v16
	v_fma_f32 v10, 0xbf3f9e67, v3, -v10
	v_add_f32_e32 v16, v20, v21
	v_mul_f32_e32 v20, 0xbf6f5d39, v2
	v_mul_f32_e32 v2, 0x3f7e222b, v2
	v_add_f32_e32 v23, v23, v37
	v_add_f32_e32 v6, v6, v14
	v_fmamk_f32 v14, v3, 0x3f116cb1, v11
	v_add_f32_e32 v10, v10, v18
	v_fmamk_f32 v18, v3, 0xbeb58ec6, v20
	v_add_f32_e32 v17, v22, v17
	v_fma_f32 v11, 0x3f116cb1, v3, -v11
	v_fma_f32 v20, 0xbeb58ec6, v3, -v20
	v_fmamk_f32 v21, v3, 0x3df6dbef, v2
	v_fma_f32 v2, 0x3df6dbef, v3, -v2
	v_add_f32_e32 v14, v14, v23
	v_add_f32_e32 v7, v18, v7
	;; [unrolled: 1-line block ×6, first 2 shown]
	s_waitcnt lgkmcnt(0)
	s_barrier
	buffer_gl0_inv
	ds_write2_b32 v4, v9, v8 offset1:1
	ds_write2_b32 v4, v15, v16 offset0:2 offset1:3
	ds_write2_b32 v4, v14, v7 offset0:4 offset1:5
	;; [unrolled: 1-line block ×5, first 2 shown]
	ds_write_b32 v4, v12 offset:48
	s_waitcnt lgkmcnt(0)
	s_barrier
	buffer_gl0_inv
	ds_read2_b32 v[8:9], v45 offset0:169 offset1:208
	ds_read2_b32 v[6:7], v57 offset0:82 offset1:121
	;; [unrolled: 1-line block ×4, first 2 shown]
	ds_read_b32 v16, v46
	ds_read_b32 v15, v49
	ds_read_b32 v14, v48
	ds_read_b32 v13, v47
                                        ; implicit-def: $vgpr11
	s_and_saveexec_b32 s1, s0
	s_cbranch_execz .LBB0_16
; %bb.15:
	v_add3_u32 v10, 0, v52, v50
	v_add_nc_u32_e32 v11, 0x400, v45
	ds_read_b32 v12, v10
	ds_read2_b32 v[10:11], v11 offset0:69 offset1:238
.LBB0_16:
	s_or_b32 exec_lo, exec_lo, s1
	v_and_b32_e32 v17, 0xff, v40
	v_and_b32_e32 v18, 0xff, v44
	;; [unrolled: 1-line block ×4, first 2 shown]
	v_mov_b32_e32 v21, 4
	v_mul_lo_u16 v17, 0x4f, v17
	v_mul_lo_u16 v18, 0x4f, v18
	;; [unrolled: 1-line block ×4, first 2 shown]
	v_lshrrev_b16 v20, 10, v17
	v_and_b32_e32 v17, 0xff, v41
	v_lshrrev_b16 v18, 10, v18
	v_lshrrev_b16 v19, 10, v19
	;; [unrolled: 1-line block ×3, first 2 shown]
	v_mul_lo_u16 v22, v20, 13
	v_mul_lo_u16 v17, 0x4f, v17
	;; [unrolled: 1-line block ×3, first 2 shown]
	v_and_b32_e32 v20, 0xffff, v20
	v_mul_lo_u16 v23, v23, 13
	v_sub_nc_u16 v22, v40, v22
	v_lshrrev_b16 v35, 10, v17
	v_mul_lo_u16 v17, v19, 13
	v_sub_nc_u16 v24, v44, v24
	v_and_b32_e32 v19, 0xffff, v19
	v_lshlrev_b32_sdwa v36, v21, v22 dst_sel:DWORD dst_unused:UNUSED_PAD src0_sel:DWORD src1_sel:BYTE_0
	v_mul_lo_u16 v37, v35, 13
	v_sub_nc_u16 v38, v43, v17
	v_lshlrev_b32_sdwa v17, v21, v24 dst_sel:DWORD dst_unused:UNUSED_PAD src0_sel:DWORD src1_sel:BYTE_0
	v_mov_b32_e32 v44, 2
	global_load_dwordx4 v[57:60], v36, s[8:9]
	v_and_b32_e32 v18, 0xffff, v18
	v_mad_u32_u24 v19, 0x9c, v19, 0
	global_load_dwordx4 v[61:64], v17, s[8:9]
	v_sub_nc_u16 v36, v41, v37
	v_sub_nc_u16 v17, v42, v23
	v_lshlrev_b32_sdwa v37, v21, v38 dst_sel:DWORD dst_unused:UNUSED_PAD src0_sel:DWORD src1_sel:BYTE_0
	v_mad_u32_u24 v20, 0x9c, v20, 0
	v_mad_u32_u24 v18, 0x9c, v18, 0
	v_lshlrev_b32_sdwa v23, v21, v36 dst_sel:DWORD dst_unused:UNUSED_PAD src0_sel:DWORD src1_sel:BYTE_0
	v_lshlrev_b32_sdwa v21, v21, v17 dst_sel:DWORD dst_unused:UNUSED_PAD src0_sel:DWORD src1_sel:BYTE_0
	s_clause 0x2
	global_load_dwordx4 v[65:68], v37, s[8:9]
	global_load_dwordx4 v[69:72], v23, s[8:9]
	;; [unrolled: 1-line block ×3, first 2 shown]
	v_and_b32_e32 v21, 0xffff, v35
	v_lshlrev_b32_sdwa v23, v44, v24 dst_sel:DWORD dst_unused:UNUSED_PAD src0_sel:DWORD src1_sel:BYTE_0
	v_lshlrev_b32_sdwa v24, v44, v38 dst_sel:DWORD dst_unused:UNUSED_PAD src0_sel:DWORD src1_sel:BYTE_0
	;; [unrolled: 1-line block ×4, first 2 shown]
	v_mad_u32_u24 v21, 0x9c, v21, 0
	v_add3_u32 v36, v18, v23, v50
	v_add3_u32 v35, v19, v24, v50
	;; [unrolled: 1-line block ×3, first 2 shown]
	s_waitcnt vmcnt(0) lgkmcnt(0)
	v_add3_u32 v21, v21, v38, v50
	s_barrier
	buffer_gl0_inv
	v_mul_f32_e32 v77, v8, v58
	v_mul_f32_e32 v43, v31, v58
	;; [unrolled: 1-line block ×8, first 2 shown]
	v_fma_f32 v31, v31, v57, -v77
	v_fma_f32 v29, v29, v59, -v58
	v_fmac_f32_e32 v43, v8, v57
	v_mul_f32_e32 v64, v4, v66
	v_mul_f32_e32 v22, v25, v66
	;; [unrolled: 1-line block ×9, first 2 shown]
	v_fma_f32 v8, v32, v61, -v60
	v_fmac_f32_e32 v42, v9, v61
	v_fma_f32 v9, v30, v63, -v62
	v_fmac_f32_e32 v24, v6, v59
	;; [unrolled: 2-line block ×3, first 2 shown]
	v_fma_f32 v4, v27, v67, -v66
	v_fma_f32 v27, v26, v69, -v68
	v_fma_f32 v28, v28, v71, -v70
	v_fmac_f32_e32 v41, v3, v71
	v_add_f32_e32 v3, v31, v29
	v_mul_f32_e32 v72, v10, v74
	v_mul_f32_e32 v18, v34, v76
	v_fmac_f32_e32 v23, v7, v63
	v_fmac_f32_e32 v19, v10, v73
	v_add_f32_e32 v10, v8, v9
	v_fmac_f32_e32 v38, v2, v67
	v_add_f32_e32 v32, v6, v4
	v_mul_f32_e32 v74, v11, v76
	v_fmac_f32_e32 v20, v5, v69
	v_add_f32_e32 v2, v56, v31
	v_sub_f32_e32 v5, v43, v24
	v_add_f32_e32 v7, v55, v8
	v_add_f32_e32 v30, v54, v6
	;; [unrolled: 1-line block ×3, first 2 shown]
	v_fmac_f32_e32 v56, -0.5, v3
	v_fmac_f32_e32 v18, v11, v75
	v_sub_f32_e32 v11, v42, v23
	v_fmac_f32_e32 v55, -0.5, v10
	v_fma_f32 v25, v33, v73, -v72
	v_sub_f32_e32 v33, v22, v38
	v_fmac_f32_e32 v54, -0.5, v32
	v_fma_f32 v26, v34, v75, -v74
	v_add_f32_e32 v34, v53, v27
	v_sub_f32_e32 v58, v20, v41
	v_add_f32_e32 v2, v2, v29
	v_add_f32_e32 v3, v7, v9
	;; [unrolled: 1-line block ×3, first 2 shown]
	v_fmac_f32_e32 v53, -0.5, v57
	v_fmamk_f32 v30, v5, 0x3f5db3d7, v56
	v_fmac_f32_e32 v56, 0xbf5db3d7, v5
	v_fmamk_f32 v5, v11, 0x3f5db3d7, v55
	v_fmac_f32_e32 v55, 0xbf5db3d7, v11
	v_fmamk_f32 v11, v33, 0x3f5db3d7, v54
	v_add_f32_e32 v10, v34, v28
	v_fmac_f32_e32 v54, 0xbf5db3d7, v33
	v_fmamk_f32 v32, v58, 0x3f5db3d7, v53
	v_fmac_f32_e32 v53, 0xbf5db3d7, v58
	ds_write2_b32 v37, v2, v30 offset1:13
	ds_write_b32 v37, v56 offset:104
	ds_write2_b32 v36, v3, v5 offset1:13
	ds_write_b32 v36, v55 offset:104
	;; [unrolled: 2-line block ×4, first 2 shown]
	s_and_saveexec_b32 s1, s0
	s_cbranch_execz .LBB0_18
; %bb.17:
	v_add_f32_e32 v2, v25, v26
	v_lshlrev_b32_sdwa v3, v44, v17 dst_sel:DWORD dst_unused:UNUSED_PAD src0_sel:DWORD src1_sel:BYTE_0
	v_sub_f32_e32 v5, v19, v18
	v_add_f32_e32 v7, v51, v25
	v_fma_f32 v2, -0.5, v2, v51
	v_add3_u32 v3, 0, v3, v50
	v_add_f32_e32 v7, v7, v26
	v_fmamk_f32 v10, v5, 0xbf5db3d7, v2
	v_fmac_f32_e32 v2, 0x3f5db3d7, v5
	v_add_nc_u32_e32 v5, 0x400, v3
	ds_write2_b32 v5, v7, v2 offset0:212 offset1:225
	ds_write_b32 v3, v10 offset:1976
.LBB0_18:
	s_or_b32 exec_lo, exec_lo, s1
	v_add_f32_e32 v2, v43, v24
	v_add_f32_e32 v7, v42, v23
	;; [unrolled: 1-line block ×3, first 2 shown]
	v_sub_f32_e32 v8, v8, v9
	v_sub_f32_e32 v5, v31, v29
	v_fmac_f32_e32 v16, -0.5, v2
	v_add_f32_e32 v2, v15, v42
	v_fmac_f32_e32 v15, -0.5, v7
	v_add_f32_e32 v29, v3, v24
	v_add_f32_e32 v3, v22, v38
	v_add3_u32 v11, 0, v52, v50
	v_fmamk_f32 v30, v5, 0xbf5db3d7, v16
	v_fmamk_f32 v32, v8, 0xbf5db3d7, v15
	v_fmac_f32_e32 v15, 0x3f5db3d7, v8
	v_add_nc_u32_e32 v8, 0x400, v45
	v_fmac_f32_e32 v16, 0x3f5db3d7, v5
	v_add_f32_e32 v31, v2, v23
	v_add_f32_e32 v33, v14, v22
	v_fmac_f32_e32 v14, -0.5, v3
	v_sub_f32_e32 v34, v6, v4
	v_add_f32_e32 v42, v13, v20
	v_add_f32_e32 v43, v20, v41
	s_waitcnt lgkmcnt(0)
	s_barrier
	buffer_gl0_inv
	ds_read_b32 v10, v46
	ds_read_b32 v20, v49
	;; [unrolled: 1-line block ×5, first 2 shown]
	ds_read2_b32 v[2:3], v45 offset0:195 offset1:234
	ds_read2_b32 v[4:5], v8 offset0:17 offset1:56
	;; [unrolled: 1-line block ×4, first 2 shown]
	v_fmac_f32_e32 v13, -0.5, v43
	v_sub_f32_e32 v27, v27, v28
	v_add_f32_e32 v28, v33, v38
	v_fmamk_f32 v33, v34, 0xbf5db3d7, v14
	v_fmac_f32_e32 v14, 0x3f5db3d7, v34
	v_add_f32_e32 v34, v42, v41
	v_fmamk_f32 v38, v27, 0xbf5db3d7, v13
	v_fmac_f32_e32 v13, 0x3f5db3d7, v27
	s_waitcnt lgkmcnt(0)
	s_barrier
	buffer_gl0_inv
	ds_write2_b32 v37, v29, v30 offset1:13
	ds_write_b32 v37, v16 offset:104
	ds_write2_b32 v36, v31, v32 offset1:13
	ds_write_b32 v36, v15 offset:104
	;; [unrolled: 2-line block ×4, first 2 shown]
	s_and_saveexec_b32 s1, s0
	s_cbranch_execz .LBB0_20
; %bb.19:
	v_mov_b32_e32 v13, 2
	v_add_f32_e32 v14, v19, v18
	v_add_f32_e32 v15, v12, v19
	v_sub_f32_e32 v16, v25, v26
	v_lshlrev_b32_sdwa v13, v13, v17 dst_sel:DWORD dst_unused:UNUSED_PAD src0_sel:DWORD src1_sel:BYTE_0
	v_fmac_f32_e32 v12, -0.5, v14
	v_add_f32_e32 v14, v15, v18
	v_add3_u32 v13, 0, v13, v50
	v_fmamk_f32 v15, v16, 0xbf5db3d7, v12
	v_fmamk_f32 v12, v16, 0x3f5db3d7, v12
	v_add_nc_u32_e32 v17, 0x400, v13
	ds_write2_b32 v17, v14, v15 offset0:212 offset1:225
	ds_write_b32 v13, v12 offset:1976
.LBB0_20:
	s_or_b32 exec_lo, exec_lo, s1
	s_waitcnt lgkmcnt(0)
	s_barrier
	buffer_gl0_inv
	s_and_saveexec_b32 s0, vcc_lo
	s_cbranch_execz .LBB0_22
; %bb.21:
	v_mul_u32_u24_e32 v12, 12, v40
	v_lshlrev_b32_e32 v16, 3, v12
	s_clause 0x5
	global_load_dwordx4 v[12:15], v16, s[8:9] offset:208
	global_load_dwordx4 v[25:28], v16, s[8:9] offset:288
	;; [unrolled: 1-line block ×6, first 2 shown]
	v_add_nc_u32_e32 v16, 0x400, v45
	ds_read_b32 v37, v49
	ds_read2_b32 v[41:42], v16 offset0:173 offset1:212
	ds_read_b32 v60, v48
	ds_read_b32 v61, v47
	ds_read2_b32 v[43:44], v16 offset0:95 offset1:134
	ds_read_b32 v62, v11
	ds_read2_b32 v[47:48], v45 offset0:195 offset1:234
	ds_read2_b32 v[49:50], v16 offset0:17 offset1:56
	ds_read_b32 v11, v46
	s_waitcnt vmcnt(5) lgkmcnt(8)
	v_mul_f32_e32 v45, v37, v13
	s_waitcnt vmcnt(4) lgkmcnt(7)
	v_mul_f32_e32 v46, v42, v28
	v_mul_f32_e32 v63, v20, v13
	v_mul_f32_e32 v16, v9, v28
	s_waitcnt lgkmcnt(6)
	v_mul_f32_e32 v13, v60, v15
	v_mul_f32_e32 v64, v41, v26
	;; [unrolled: 1-line block ×4, first 2 shown]
	s_waitcnt vmcnt(3) lgkmcnt(5)
	v_mul_f32_e32 v15, v61, v30
	s_waitcnt vmcnt(2) lgkmcnt(4)
	v_mul_f32_e32 v65, v44, v36
	v_mul_f32_e32 v18, v7, v36
	;; [unrolled: 1-line block ×3, first 2 shown]
	s_waitcnt lgkmcnt(3)
	v_mul_f32_e32 v30, v62, v32
	v_mul_f32_e32 v36, v43, v34
	;; [unrolled: 1-line block ×4, first 2 shown]
	s_waitcnt vmcnt(1) lgkmcnt(2)
	v_mul_f32_e32 v32, v47, v53
	s_waitcnt vmcnt(0) lgkmcnt(1)
	v_mul_f32_e32 v66, v50, v59
	v_mul_f32_e32 v21, v5, v59
	;; [unrolled: 1-line block ×5, first 2 shown]
	v_fma_f32 v55, v20, v12, -v45
	v_fma_f32 v20, v9, v27, -v46
	v_fmac_f32_e32 v63, v12, v37
	v_mul_f32_e32 v59, v49, v57
	v_mul_f32_e32 v26, v4, v57
	v_fmac_f32_e32 v16, v27, v42
	v_fma_f32 v57, v22, v14, -v13
	v_fma_f32 v22, v8, v25, -v64
	v_fmac_f32_e32 v17, v25, v41
	v_fmac_f32_e32 v51, v14, v60
	v_fmac_f32_e32 v19, v33, v43
	v_fma_f32 v25, v5, v58, -v66
	v_fmac_f32_e32 v21, v58, v50
	v_sub_f32_e32 v43, v55, v20
	s_waitcnt lgkmcnt(0)
	v_add_f32_e32 v58, v63, v11
	v_fma_f32 v42, v23, v29, -v15
	v_fmac_f32_e32 v18, v35, v44
	v_fmac_f32_e32 v40, v29, v61
	v_fma_f32 v29, v3, v54, -v53
	v_fma_f32 v27, v4, v56, -v59
	v_fmac_f32_e32 v26, v56, v49
	v_fmac_f32_e32 v28, v54, v48
	v_add_f32_e32 v15, v63, v16
	v_sub_f32_e32 v44, v57, v22
	v_add_f32_e32 v14, v51, v17
	v_sub_f32_e32 v54, v63, v16
	v_sub_f32_e32 v56, v51, v17
	v_mul_f32_e32 v71, 0xbf29c268, v43
	v_add_f32_e32 v51, v58, v51
	v_fma_f32 v23, v7, v35, -v65
	v_fmac_f32_e32 v38, v31, v62
	v_add_f32_e32 v13, v40, v18
	v_add_f32_e32 v12, v55, v20
	v_sub_f32_e32 v46, v40, v18
	v_add_f32_e32 v55, v10, v55
	v_mul_f32_e32 v59, 0xbe750f2a, v43
	v_mul_f32_e32 v65, 0xbe750f2a, v54
	;; [unrolled: 1-line block ×5, first 2 shown]
	v_fmamk_f32 v102, v15, 0xbf3f9e67, v71
	v_add_f32_e32 v40, v51, v40
	v_fma_f32 v41, v24, v31, -v30
	v_fma_f32 v24, v6, v33, -v36
	;; [unrolled: 1-line block ×3, first 2 shown]
	v_fmac_f32_e32 v34, v52, v47
	v_add_f32_e32 v7, v38, v19
	v_add_f32_e32 v9, v57, v22
	v_sub_f32_e32 v37, v38, v19
	v_mul_f32_e32 v60, 0x3eedf032, v44
	v_mul_f32_e32 v66, 0x3eedf032, v56
	;; [unrolled: 1-line block ×13, first 2 shown]
	v_add_f32_e32 v54, v55, v57
	v_fmamk_f32 v98, v15, 0xbf788fa5, v59
	v_fma_f32 v99, 0xbf788fa5, v12, -v65
	v_fma_f32 v103, 0xbf3f9e67, v12, -v74
	v_fmamk_f32 v104, v14, 0x3df6dbef, v72
	v_fmamk_f32 v106, v15, 0xbeb58ec6, v83
	v_add_f32_e32 v38, v40, v38
	v_add_f32_e32 v102, v11, v102
	v_fma_f32 v83, 0xbeb58ec6, v15, -v83
	v_sub_f32_e32 v45, v42, v23
	v_add_f32_e32 v6, v34, v21
	v_add_f32_e32 v8, v42, v23
	v_sub_f32_e32 v32, v34, v21
	v_mul_f32_e32 v67, 0xbf29c268, v46
	v_mul_f32_e32 v86, 0x3f29c268, v56
	v_fmamk_f32 v100, v14, 0x3f62ad3f, v60
	v_fma_f32 v101, 0x3f62ad3f, v9, -v66
	v_fma_f32 v105, 0x3df6dbef, v9, -v75
	v_fmamk_f32 v107, v14, 0xbf3f9e67, v84
	v_fma_f32 v51, 0xbeb58ec6, v12, -v85
	v_add_f32_e32 v42, v54, v42
	v_add_f32_e32 v98, v11, v98
	v_fmamk_f32 v40, v15, 0x3df6dbef, v91
	v_add_f32_e32 v99, v10, v99
	v_add_f32_e32 v103, v10, v103
	;; [unrolled: 1-line block ×4, first 2 shown]
	v_fmamk_f32 v104, v15, 0x3f116cb1, v53
	v_fmac_f32_e32 v85, 0xbeb58ec6, v12
	v_add_f32_e32 v34, v38, v34
	v_fma_f32 v38, 0xbf3f9e67, v14, -v84
	v_add_f32_e32 v83, v11, v83
	v_sub_f32_e32 v35, v41, v24
	v_add_f32_e32 v5, v41, v24
	v_mul_f32_e32 v73, 0xbf52af12, v45
	v_mul_f32_e32 v76, 0xbf52af12, v46
	;; [unrolled: 1-line block ×6, first 2 shown]
	v_fma_f32 v54, 0xbf3f9e67, v9, -v86
	v_add_f32_e32 v41, v42, v41
	v_fmamk_f32 v42, v14, 0xbf788fa5, v92
	v_add_f32_e32 v98, v98, v100
	v_fma_f32 v100, 0x3df6dbef, v12, -v93
	v_add_f32_e32 v99, v99, v101
	v_add_f32_e32 v103, v103, v105
	v_fmamk_f32 v105, v14, 0xbeb58ec6, v52
	v_add_f32_e32 v51, v10, v51
	v_add_f32_e32 v106, v106, v107
	v_fma_f32 v107, 0x3f116cb1, v12, -v50
	v_add_f32_e32 v40, v11, v40
	v_add_f32_e32 v104, v11, v104
	v_fmac_f32_e32 v86, 0xbf3f9e67, v9
	v_add_f32_e32 v84, v10, v85
	v_add_f32_e32 v38, v83, v38
	v_fma_f32 v83, 0xbf3f9e67, v8, -v67
	v_mul_f32_e32 v61, 0xbf29c268, v45
	v_mul_f32_e32 v43, 0xbf52af12, v56
	;; [unrolled: 1-line block ×5, first 2 shown]
	v_fma_f32 v101, 0xbf788fa5, v9, -v94
	v_add_f32_e32 v100, v10, v100
	v_add_f32_e32 v51, v51, v54
	v_fma_f32 v54, 0xbeb58ec6, v9, -v48
	v_add_f32_e32 v40, v40, v42
	v_fmamk_f32 v42, v15, 0x3f62ad3f, v49
	v_add_f32_e32 v107, v10, v107
	v_add_f32_e32 v104, v104, v105
	v_fma_f32 v105, 0x3f62ad3f, v12, -v44
	v_fma_f32 v59, 0xbf788fa5, v15, -v59
	v_fmac_f32_e32 v65, 0xbf788fa5, v12
	v_fma_f32 v71, 0xbf3f9e67, v15, -v71
	v_fmac_f32_e32 v74, 0xbf3f9e67, v12
	v_add_f32_e32 v84, v84, v86
	v_fmamk_f32 v85, v13, 0x3f116cb1, v73
	v_fma_f32 v86, 0x3f116cb1, v8, -v76
	v_add_f32_e32 v83, v99, v83
	v_fma_f32 v99, 0x3f62ad3f, v8, -v88
	v_sub_f32_e32 v31, v36, v25
	v_add_f32_e32 v4, v36, v25
	v_mul_f32_e32 v87, 0x3eedf032, v45
	v_mul_f32_e32 v97, 0xbe750f2a, v46
	;; [unrolled: 1-line block ×4, first 2 shown]
	v_add_f32_e32 v100, v100, v101
	v_fmamk_f32 v101, v14, 0x3f116cb1, v47
	v_add_f32_e32 v42, v11, v42
	v_add_f32_e32 v54, v107, v54
	v_fma_f32 v107, 0x3f116cb1, v9, -v43
	v_add_f32_e32 v105, v10, v105
	v_fma_f32 v60, 0x3f62ad3f, v14, -v60
	v_add_f32_e32 v59, v11, v59
	v_fmac_f32_e32 v66, 0x3f62ad3f, v9
	v_add_f32_e32 v65, v10, v65
	v_fma_f32 v72, 0x3df6dbef, v14, -v72
	v_add_f32_e32 v71, v11, v71
	v_fmac_f32_e32 v75, 0x3df6dbef, v9
	v_add_f32_e32 v74, v10, v74
	v_add_f32_e32 v36, v41, v36
	v_fmamk_f32 v41, v13, 0xbf3f9e67, v61
	v_add_f32_e32 v85, v102, v85
	v_add_f32_e32 v86, v103, v86
	v_fmamk_f32 v102, v13, 0xbeb58ec6, v58
	v_fma_f32 v103, 0xbeb58ec6, v8, -v95
	v_add_f32_e32 v51, v51, v99
	v_fmamk_f32 v99, v13, 0xbf788fa5, v96
	v_sub_f32_e32 v33, v28, v26
	v_mul_f32_e32 v62, 0x3f52af12, v35
	v_mul_f32_e32 v68, 0x3f52af12, v37
	;; [unrolled: 1-line block ×4, first 2 shown]
	v_add_f32_e32 v42, v42, v101
	v_add_f32_e32 v105, v105, v107
	;; [unrolled: 1-line block ×3, first 2 shown]
	v_mul_f32_e32 v60, 0x3eedf032, v37
	v_add_f32_e32 v65, v65, v66
	v_add_f32_e32 v71, v71, v72
	;; [unrolled: 1-line block ×4, first 2 shown]
	v_fmamk_f32 v98, v13, 0x3f62ad3f, v87
	v_add_f32_e32 v40, v40, v102
	v_mul_f32_e32 v102, 0x3f29c268, v37
	v_add_f32_e32 v100, v100, v103
	v_fma_f32 v103, 0xbf788fa5, v8, -v97
	v_add_f32_e32 v99, v104, v99
	v_fmamk_f32 v104, v13, 0x3df6dbef, v45
	v_mul_f32_e32 v109, 0xbf6f5d39, v37
	v_fma_f32 v37, 0x3df6dbef, v8, -v46
	v_fma_f32 v61, 0xbf3f9e67, v13, -v61
	v_fmac_f32_e32 v67, 0xbf3f9e67, v8
	v_fma_f32 v73, 0x3f116cb1, v13, -v73
	v_fmac_f32_e32 v76, 0x3f116cb1, v8
	v_sub_f32_e32 v30, v29, v27
	v_add_f32_e32 v2, v28, v26
	v_add_f32_e32 v3, v29, v27
	v_mul_f32_e32 v63, 0xbf6f5d39, v31
	v_mul_f32_e32 v69, 0xbf6f5d39, v32
	;; [unrolled: 1-line block ×15, first 2 shown]
	v_add_f32_e32 v98, v106, v98
	v_mul_f32_e32 v106, 0xbf6f5d39, v35
	v_add_f32_e32 v35, v54, v103
	v_add_f32_e32 v42, v42, v104
	v_mul_f32_e32 v54, 0xbf29c268, v33
	v_add_f32_e32 v37, v105, v37
	v_mul_f32_e32 v103, 0x3f7e222b, v31
	;; [unrolled: 2-line block ×3, first 2 shown]
	v_add_f32_e32 v65, v65, v67
	v_add_f32_e32 v71, v71, v73
	v_mul_f32_e32 v73, 0x3eedf032, v33
	v_mul_f32_e32 v104, 0xbf29c268, v31
	;; [unrolled: 1-line block ×4, first 2 shown]
	v_add_f32_e32 v31, v74, v76
	v_fmamk_f32 v32, v7, 0x3f116cb1, v62
	v_add_f32_e32 v28, v34, v28
	v_fma_f32 v33, 0x3f116cb1, v5, -v68
	v_add_f32_e32 v29, v36, v29
	v_fma_f32 v36, 0xbf788fa5, v5, -v78
	v_fma_f32 v62, 0x3f116cb1, v7, -v62
	v_fmac_f32_e32 v68, 0x3f116cb1, v5
	v_fmac_f32_e32 v78, 0xbf788fa5, v5
	v_mul_f32_e32 v64, 0x3f7e222b, v30
	v_mul_f32_e32 v81, 0xbf6f5d39, v30
	;; [unrolled: 1-line block ×6, first 2 shown]
	v_fma_f32 v30, 0x3f62ad3f, v13, -v87
	v_add_f32_e32 v36, v86, v36
	v_fmamk_f32 v86, v6, 0xbeb58ec6, v63
	v_fma_f32 v87, 0xbeb58ec6, v4, -v69
	v_add_f32_e32 v59, v59, v62
	v_fma_f32 v62, 0x3f62ad3f, v4, -v80
	v_add_f32_e32 v65, v65, v68
	v_add_f32_e32 v31, v31, v78
	;; [unrolled: 1-line block ×4, first 2 shown]
	v_fma_f32 v63, 0xbeb58ec6, v6, -v63
	v_fmac_f32_e32 v69, 0xbeb58ec6, v4
	v_fmac_f32_e32 v80, 0x3f62ad3f, v4
	v_add_f32_e32 v21, v21, v26
	v_add_f32_e32 v32, v41, v32
	;; [unrolled: 1-line block ×6, first 2 shown]
	v_fma_f32 v41, 0x3df6dbef, v5, -v90
	v_fmamk_f32 v76, v7, 0x3f62ad3f, v107
	v_add_f32_e32 v19, v19, v21
	v_fmac_f32_e32 v88, 0x3f62ad3f, v8
	v_add_f32_e32 v21, v24, v31
	v_fmamk_f32 v34, v7, 0xbf788fa5, v77
	v_add_f32_e32 v33, v83, v33
	v_add_f32_e32 v41, v51, v41
	v_fmamk_f32 v51, v7, 0xbeb58ec6, v106
	v_add_f32_e32 v40, v40, v76
	v_fma_f32 v76, 0xbeb58ec6, v5, -v109
	v_add_f32_e32 v24, v18, v19
	v_add_f32_e32 v21, v23, v21
	;; [unrolled: 1-line block ×4, first 2 shown]
	v_fmamk_f32 v74, v7, 0x3df6dbef, v89
	v_add_f32_e32 v34, v85, v34
	v_fma_f32 v85, 0xbf3f9e67, v5, -v102
	v_fma_f32 v77, 0xbf788fa5, v7, -v77
	;; [unrolled: 1-line block ×3, first 2 shown]
	v_add_f32_e32 v42, v42, v51
	v_add_f32_e32 v37, v37, v76
	v_fma_f32 v78, 0xbf788fa5, v4, -v56
	v_fmamk_f32 v28, v6, 0x3f116cb1, v66
	v_add_f32_e32 v32, v32, v86
	v_fmamk_f32 v86, v6, 0xbf3f9e67, v104
	v_add_f32_e32 v33, v33, v87
	v_fma_f32 v87, 0xbf3f9e67, v4, -v105
	v_fma_f32 v91, 0x3df6dbef, v15, -v91
	v_add_f32_e32 v17, v17, v24
	v_add_f32_e32 v21, v22, v21
	v_fma_f32 v83, 0x3f62ad3f, v5, -v60
	v_add_f32_e32 v74, v98, v74
	v_add_f32_e32 v35, v35, v85
	v_fmamk_f32 v85, v2, 0x3df6dbef, v64
	v_add_f32_e32 v71, v71, v77
	v_fmamk_f32 v77, v6, 0xbf788fa5, v55
	v_add_f32_e32 v88, v30, v88
	v_add_f32_e32 v41, v41, v78
	v_fmamk_f32 v78, v2, 0xbf3f9e67, v75
	v_add_f32_e32 v40, v40, v28
	v_add_f32_e32 v42, v42, v86
	v_fma_f32 v86, 0xbf788fa5, v3, -v111
	v_fma_f32 v55, 0xbf788fa5, v6, -v55
	v_add_f32_e32 v37, v37, v87
	v_add_f32_e32 v17, v16, v17
	;; [unrolled: 1-line block ×4, first 2 shown]
	v_fma_f32 v21, 0xbf788fa5, v14, -v92
	v_add_f32_e32 v83, v100, v83
	v_fmac_f32_e32 v90, 0x3df6dbef, v5
	v_fma_f32 v29, 0x3f116cb1, v4, -v72
	v_add_f32_e32 v74, v74, v77
	v_fma_f32 v77, 0x3f116cb1, v3, -v101
	v_add_f32_e32 v26, v32, v85
	v_add_f32_e32 v32, v40, v78
	;; [unrolled: 1-line block ×4, first 2 shown]
	v_fmac_f32_e32 v93, 0x3df6dbef, v12
	v_fma_f32 v37, 0x3f116cb1, v2, -v57
	v_add_f32_e32 v20, v20, v21
	v_fma_f32 v40, 0xbeb58ec6, v13, -v58
	v_add_f32_e32 v38, v38, v90
	;; [unrolled: 2-line block ×3, first 2 shown]
	v_add_f32_e32 v29, v41, v77
	v_fmac_f32_e32 v56, 0xbf788fa5, v4
	v_add_f32_e32 v41, v10, v93
	v_fmac_f32_e32 v94, 0xbf788fa5, v9
	v_add_f32_e32 v21, v24, v37
	v_add_f32_e32 v20, v20, v40
	v_fma_f32 v37, 0x3f62ad3f, v7, -v107
	v_fma_f32 v40, 0x3f116cb1, v15, -v53
	v_add_f32_e32 v35, v35, v89
	v_fmamk_f32 v89, v2, 0xbf788fa5, v110
	v_add_f32_e32 v24, v38, v56
	v_add_f32_e32 v38, v41, v94
	v_fmac_f32_e32 v95, 0xbeb58ec6, v8
	v_add_f32_e32 v20, v20, v37
	v_fma_f32 v37, 0x3f116cb1, v6, -v66
	v_add_f32_e32 v40, v11, v40
	v_fma_f32 v41, 0xbeb58ec6, v14, -v52
	v_fma_f32 v51, 0x3df6dbef, v3, -v70
	v_add_f32_e32 v19, v42, v89
	v_add_f32_e32 v38, v38, v95
	v_fmac_f32_e32 v60, 0x3f62ad3f, v5
	v_add_f32_e32 v37, v20, v37
	v_fma_f32 v42, 0xbf3f9e67, v2, -v75
	v_add_f32_e32 v40, v40, v41
	v_fma_f32 v41, 0xbf788fa5, v13, -v96
	v_fmac_f32_e32 v50, 0x3f116cb1, v12
	v_fma_f32 v15, 0x3f62ad3f, v15, -v49
	v_add_f32_e32 v25, v33, v51
	v_fmac_f32_e32 v101, 0x3f116cb1, v3
	v_add_f32_e32 v51, v38, v60
	v_fmac_f32_e32 v72, 0x3f116cb1, v4
	v_add_f32_e32 v38, v37, v42
	v_add_f32_e32 v37, v40, v41
	;; [unrolled: 1-line block ×3, first 2 shown]
	v_fmac_f32_e32 v48, 0xbeb58ec6, v9
	v_add_f32_e32 v11, v11, v15
	v_fma_f32 v14, 0x3f116cb1, v14, -v47
	v_fma_f32 v90, 0xbf3f9e67, v3, -v54
	v_add_f32_e32 v20, v24, v101
	v_add_f32_e32 v24, v51, v72
	v_fma_f32 v40, 0xbf3f9e67, v7, -v108
	v_fmac_f32_e32 v54, 0xbf3f9e67, v3
	v_add_f32_e32 v41, v41, v48
	v_fmac_f32_e32 v97, 0xbf788fa5, v8
	v_add_f32_e32 v11, v11, v14
	v_fma_f32 v13, 0x3df6dbef, v13, -v45
	v_add_f32_e32 v40, v37, v40
	v_fma_f32 v42, 0x3df6dbef, v6, -v103
	v_add_f32_e32 v37, v24, v54
	v_add_f32_e32 v24, v41, v97
	v_fmac_f32_e32 v102, 0xbf3f9e67, v5
	v_fmac_f32_e32 v44, 0x3f62ad3f, v12
	v_fmamk_f32 v84, v7, 0xbf3f9e67, v108
	v_add_f32_e32 v11, v11, v13
	v_fma_f32 v7, 0xbeb58ec6, v7, -v106
	v_add_f32_e32 v15, v40, v42
	v_fma_f32 v14, 0x3f62ad3f, v2, -v67
	v_add_f32_e32 v12, v24, v102
	v_fmac_f32_e32 v61, 0x3df6dbef, v4
	v_add_f32_e32 v10, v10, v44
	v_fmac_f32_e32 v43, 0x3f116cb1, v9
	v_fmamk_f32 v76, v6, 0x3f62ad3f, v79
	v_fmamk_f32 v30, v6, 0x3df6dbef, v103
	v_fma_f32 v79, 0x3f62ad3f, v6, -v79
	v_add_f32_e32 v11, v11, v7
	v_fma_f32 v13, 0xbf3f9e67, v6, -v104
	v_mad_u64_u32 v[6:7], null, s2, v39, 0
	v_add_f32_e32 v84, v99, v84
	v_fma_f32 v99, 0x3f62ad3f, v3, -v73
	v_add_f32_e32 v12, v12, v61
	v_fmac_f32_e32 v73, 0x3f62ad3f, v3
	v_add_f32_e32 v10, v10, v43
	v_fmac_f32_e32 v46, 0x3df6dbef, v8
	v_add_f32_e32 v9, v15, v14
	v_add_nc_u32_e32 v15, 39, v39
	v_fmamk_f32 v68, v2, 0xbeb58ec6, v81
	v_add_f32_e32 v36, v36, v62
	v_fmamk_f32 v62, v2, 0x3f116cb1, v57
	v_fmamk_f32 v98, v2, 0x3f62ad3f, v67
	v_fma_f32 v64, 0x3df6dbef, v2, -v64
	v_fma_f32 v81, 0xbeb58ec6, v2, -v81
	;; [unrolled: 1-line block ×3, first 2 shown]
	v_mov_b32_e32 v2, v7
	v_add_f32_e32 v8, v12, v73
	v_add_f32_e32 v14, v11, v13
	;; [unrolled: 1-line block ×3, first 2 shown]
	v_mad_u64_u32 v[10:11], null, s2, v15, 0
	v_fmac_f32_e32 v109, 0xbeb58ec6, v5
	v_add_nc_u32_e32 v40, 0x4e, v39
	v_fmac_f32_e32 v105, 0xbf3f9e67, v4
	v_mad_u64_u32 v[4:5], null, s3, v39, v[2:3]
	v_add_f32_e32 v7, v12, v109
	v_mad_u64_u32 v[12:13], null, s2, v40, 0
	v_mov_b32_e32 v2, v11
	v_add_f32_e32 v5, v14, v24
	v_add_f32_e32 v14, v7, v105
	v_mov_b32_e32 v7, v4
	v_add_f32_e32 v34, v34, v76
	v_fma_f32 v76, 0xbeb58ec6, v3, -v82
	v_fmac_f32_e32 v70, 0x3df6dbef, v3
	v_fmac_f32_e32 v82, 0xbeb58ec6, v3
	;; [unrolled: 1-line block ×3, first 2 shown]
	v_mad_u64_u32 v[2:3], null, s3, v15, v[2:3]
	v_add_co_u32 v24, vcc_lo, s12, v0
	v_mov_b32_e32 v3, v13
	v_add_co_ci_u32_e32 v41, vcc_lo, s13, v1, vcc_lo
	v_lshlrev_b64 v[0:1], 3, v[6:7]
	v_mov_b32_e32 v11, v2
	v_mad_u64_u32 v[2:3], null, s3, v40, v[3:4]
	v_add_nc_u32_e32 v3, 0x75, v39
	v_add_nc_u32_e32 v40, 0xc3, v39
	v_add_co_u32 v0, vcc_lo, v24, v0
	v_add_co_ci_u32_e32 v1, vcc_lo, v41, v1, vcc_lo
	v_lshlrev_b64 v[6:7], 3, v[10:11]
	v_mad_u64_u32 v[10:11], null, s2, v3, 0
	global_store_dwordx2 v[0:1], v[16:17], off
	v_mov_b32_e32 v13, v2
	v_add_nc_u32_e32 v16, 0x9c, v39
	v_add_co_u32 v0, vcc_lo, v24, v6
	v_add_co_ci_u32_e32 v1, vcc_lo, v41, v7, vcc_lo
	v_mov_b32_e32 v2, v11
	v_lshlrev_b64 v[6:7], 3, v[12:13]
	v_mad_u64_u32 v[12:13], null, s2, v16, 0
	v_add_f32_e32 v4, v14, v111
	v_mad_u64_u32 v[2:3], null, s3, v3, v[2:3]
	v_mad_u64_u32 v[14:15], null, s2, v40, 0
	v_add_nc_u32_e32 v42, 0xea, v39
	v_mov_b32_e32 v3, v13
	v_add_f32_e32 v84, v84, v30
	v_add_co_u32 v6, vcc_lo, v24, v6
	v_mov_b32_e32 v11, v2
	v_mad_u64_u32 v[16:17], null, s3, v16, v[3:4]
	v_mad_u64_u32 v[2:3], null, s2, v42, 0
	global_store_dwordx2 v[0:1], v[18:19], off
	v_mov_b32_e32 v0, v15
	v_add_f32_e32 v28, v34, v68
	v_add_f32_e32 v34, v84, v98
	;; [unrolled: 1-line block ×3, first 2 shown]
	v_add_co_ci_u32_e32 v7, vcc_lo, v41, v7, vcc_lo
	v_mad_u64_u32 v[0:1], null, s3, v40, v[0:1]
	v_mov_b32_e32 v13, v16
	global_store_dwordx2 v[6:7], v[33:34], off
	v_lshlrev_b64 v[6:7], 3, v[10:11]
	v_mov_b32_e32 v1, v3
	v_add_nc_u32_e32 v18, 0x111, v39
	v_lshlrev_b64 v[10:11], 3, v[12:13]
	v_add_f32_e32 v31, v83, v90
	v_mov_b32_e32 v15, v0
	v_mad_u64_u32 v[12:13], null, s3, v42, v[1:2]
	v_mad_u64_u32 v[16:17], null, s2, v18, 0
	v_add_co_u32 v6, vcc_lo, v24, v6
	v_add_co_ci_u32_e32 v7, vcc_lo, v41, v7, vcc_lo
	v_add_co_u32 v0, vcc_lo, v24, v10
	v_add_f32_e32 v30, v74, v62
	v_add_co_ci_u32_e32 v1, vcc_lo, v41, v11, vcc_lo
	v_mov_b32_e32 v3, v12
	global_store_dwordx2 v[6:7], v[31:32], off
	v_mov_b32_e32 v6, v17
	v_lshlrev_b64 v[10:11], 3, v[14:15]
	global_store_dwordx2 v[0:1], v[29:30], off
	v_lshlrev_b64 v[0:1], 3, v[2:3]
	v_add_f32_e32 v27, v36, v76
	v_mad_u64_u32 v[2:3], null, s3, v18, v[6:7]
	v_add_co_u32 v6, vcc_lo, v24, v10
	v_add_co_ci_u32_e32 v7, vcc_lo, v41, v11, vcc_lo
	v_add_co_u32 v0, vcc_lo, v24, v0
	v_add_co_ci_u32_e32 v1, vcc_lo, v41, v1, vcc_lo
	v_mov_b32_e32 v17, v2
	v_add_nc_u32_e32 v12, 0x138, v39
	global_store_dwordx2 v[6:7], v[27:28], off
	global_store_dwordx2 v[0:1], v[25:26], off
	v_add_nc_u32_e32 v14, 0x15f, v39
	v_lshlrev_b64 v[0:1], 3, v[16:17]
	v_add_nc_u32_e32 v16, 0x186, v39
	v_mad_u64_u32 v[2:3], null, s2, v12, 0
	v_mad_u64_u32 v[6:7], null, s2, v14, 0
	;; [unrolled: 1-line block ×3, first 2 shown]
	v_add_nc_u32_e32 v19, 0x1ad, v39
	v_add_co_u32 v0, vcc_lo, v24, v0
	v_mad_u64_u32 v[12:13], null, s3, v12, v[3:4]
	v_mad_u64_u32 v[13:14], null, s3, v14, v[7:8]
	v_mov_b32_e32 v3, v11
	v_mad_u64_u32 v[14:15], null, s2, v19, 0
	v_add_f32_e32 v23, v59, v64
	v_add_f32_e32 v22, v63, v70
	v_add_co_ci_u32_e32 v1, vcc_lo, v41, v1, vcc_lo
	v_mad_u64_u32 v[16:17], null, s3, v16, v[3:4]
	v_mov_b32_e32 v3, v12
	v_add_nc_u32_e32 v25, 0x1d4, v39
	global_store_dwordx2 v[0:1], v[22:23], off
	v_mov_b32_e32 v0, v15
	v_mov_b32_e32 v7, v13
	v_lshlrev_b64 v[1:2], 3, v[2:3]
	v_mad_u64_u32 v[17:18], null, s2, v25, 0
	v_mov_b32_e32 v11, v16
	v_lshlrev_b64 v[6:7], 3, v[6:7]
	v_add_f32_e32 v65, v71, v79
	v_mad_u64_u32 v[12:13], null, s3, v19, v[0:1]
	v_add_co_u32 v1, vcc_lo, v24, v1
	v_mov_b32_e32 v0, v18
	v_lshlrev_b64 v[10:11], 3, v[10:11]
	v_add_co_ci_u32_e32 v2, vcc_lo, v41, v2, vcc_lo
	v_mov_b32_e32 v15, v12
	v_mad_u64_u32 v[18:19], null, s3, v25, v[0:1]
	v_add_co_u32 v6, vcc_lo, v24, v6
	v_lshlrev_b64 v[12:13], 3, v[14:15]
	v_add_co_ci_u32_e32 v7, vcc_lo, v41, v7, vcc_lo
	v_add_co_u32 v10, vcc_lo, v24, v10
	v_lshlrev_b64 v[14:15], 3, v[17:18]
	v_add_co_ci_u32_e32 v11, vcc_lo, v41, v11, vcc_lo
	v_add_co_u32 v12, vcc_lo, v24, v12
	v_add_f32_e32 v36, v65, v81
	v_add_f32_e32 v35, v69, v82
	v_add_co_ci_u32_e32 v13, vcc_lo, v41, v13, vcc_lo
	v_add_co_u32 v14, vcc_lo, v24, v14
	v_add_co_ci_u32_e32 v15, vcc_lo, v41, v15, vcc_lo
	global_store_dwordx2 v[1:2], v[35:36], off
	global_store_dwordx2 v[6:7], v[20:21], off
	;; [unrolled: 1-line block ×5, first 2 shown]
.LBB0_22:
	s_endpgm
	.section	.rodata,"a",@progbits
	.p2align	6, 0x0
	.amdhsa_kernel fft_rtc_fwd_len507_factors_13_3_13_wgs_117_tpt_39_halfLds_sp_ip_CI_sbrr_dirReg
		.amdhsa_group_segment_fixed_size 0
		.amdhsa_private_segment_fixed_size 0
		.amdhsa_kernarg_size 88
		.amdhsa_user_sgpr_count 6
		.amdhsa_user_sgpr_private_segment_buffer 1
		.amdhsa_user_sgpr_dispatch_ptr 0
		.amdhsa_user_sgpr_queue_ptr 0
		.amdhsa_user_sgpr_kernarg_segment_ptr 1
		.amdhsa_user_sgpr_dispatch_id 0
		.amdhsa_user_sgpr_flat_scratch_init 0
		.amdhsa_user_sgpr_private_segment_size 0
		.amdhsa_wavefront_size32 1
		.amdhsa_uses_dynamic_stack 0
		.amdhsa_system_sgpr_private_segment_wavefront_offset 0
		.amdhsa_system_sgpr_workgroup_id_x 1
		.amdhsa_system_sgpr_workgroup_id_y 0
		.amdhsa_system_sgpr_workgroup_id_z 0
		.amdhsa_system_sgpr_workgroup_info 0
		.amdhsa_system_vgpr_workitem_id 0
		.amdhsa_next_free_vgpr 112
		.amdhsa_next_free_sgpr 23
		.amdhsa_reserve_vcc 1
		.amdhsa_reserve_flat_scratch 0
		.amdhsa_float_round_mode_32 0
		.amdhsa_float_round_mode_16_64 0
		.amdhsa_float_denorm_mode_32 3
		.amdhsa_float_denorm_mode_16_64 3
		.amdhsa_dx10_clamp 1
		.amdhsa_ieee_mode 1
		.amdhsa_fp16_overflow 0
		.amdhsa_workgroup_processor_mode 1
		.amdhsa_memory_ordered 1
		.amdhsa_forward_progress 0
		.amdhsa_shared_vgpr_count 0
		.amdhsa_exception_fp_ieee_invalid_op 0
		.amdhsa_exception_fp_denorm_src 0
		.amdhsa_exception_fp_ieee_div_zero 0
		.amdhsa_exception_fp_ieee_overflow 0
		.amdhsa_exception_fp_ieee_underflow 0
		.amdhsa_exception_fp_ieee_inexact 0
		.amdhsa_exception_int_div_zero 0
	.end_amdhsa_kernel
	.text
.Lfunc_end0:
	.size	fft_rtc_fwd_len507_factors_13_3_13_wgs_117_tpt_39_halfLds_sp_ip_CI_sbrr_dirReg, .Lfunc_end0-fft_rtc_fwd_len507_factors_13_3_13_wgs_117_tpt_39_halfLds_sp_ip_CI_sbrr_dirReg
                                        ; -- End function
	.section	.AMDGPU.csdata,"",@progbits
; Kernel info:
; codeLenInByte = 10596
; NumSgprs: 25
; NumVgprs: 112
; ScratchSize: 0
; MemoryBound: 0
; FloatMode: 240
; IeeeMode: 1
; LDSByteSize: 0 bytes/workgroup (compile time only)
; SGPRBlocks: 3
; VGPRBlocks: 13
; NumSGPRsForWavesPerEU: 25
; NumVGPRsForWavesPerEU: 112
; Occupancy: 9
; WaveLimiterHint : 1
; COMPUTE_PGM_RSRC2:SCRATCH_EN: 0
; COMPUTE_PGM_RSRC2:USER_SGPR: 6
; COMPUTE_PGM_RSRC2:TRAP_HANDLER: 0
; COMPUTE_PGM_RSRC2:TGID_X_EN: 1
; COMPUTE_PGM_RSRC2:TGID_Y_EN: 0
; COMPUTE_PGM_RSRC2:TGID_Z_EN: 0
; COMPUTE_PGM_RSRC2:TIDIG_COMP_CNT: 0
	.text
	.p2alignl 6, 3214868480
	.fill 48, 4, 3214868480
	.type	__hip_cuid_a1b632ee3e2ff2fc,@object ; @__hip_cuid_a1b632ee3e2ff2fc
	.section	.bss,"aw",@nobits
	.globl	__hip_cuid_a1b632ee3e2ff2fc
__hip_cuid_a1b632ee3e2ff2fc:
	.byte	0                               ; 0x0
	.size	__hip_cuid_a1b632ee3e2ff2fc, 1

	.ident	"AMD clang version 19.0.0git (https://github.com/RadeonOpenCompute/llvm-project roc-6.4.0 25133 c7fe45cf4b819c5991fe208aaa96edf142730f1d)"
	.section	".note.GNU-stack","",@progbits
	.addrsig
	.addrsig_sym __hip_cuid_a1b632ee3e2ff2fc
	.amdgpu_metadata
---
amdhsa.kernels:
  - .args:
      - .actual_access:  read_only
        .address_space:  global
        .offset:         0
        .size:           8
        .value_kind:     global_buffer
      - .offset:         8
        .size:           8
        .value_kind:     by_value
      - .actual_access:  read_only
        .address_space:  global
        .offset:         16
        .size:           8
        .value_kind:     global_buffer
      - .actual_access:  read_only
        .address_space:  global
        .offset:         24
        .size:           8
        .value_kind:     global_buffer
      - .offset:         32
        .size:           8
        .value_kind:     by_value
      - .actual_access:  read_only
        .address_space:  global
        .offset:         40
        .size:           8
        .value_kind:     global_buffer
      - .actual_access:  read_only
        .address_space:  global
        .offset:         48
        .size:           8
        .value_kind:     global_buffer
      - .offset:         56
        .size:           4
        .value_kind:     by_value
      - .actual_access:  read_only
        .address_space:  global
        .offset:         64
        .size:           8
        .value_kind:     global_buffer
      - .actual_access:  read_only
        .address_space:  global
        .offset:         72
        .size:           8
        .value_kind:     global_buffer
      - .address_space:  global
        .offset:         80
        .size:           8
        .value_kind:     global_buffer
    .group_segment_fixed_size: 0
    .kernarg_segment_align: 8
    .kernarg_segment_size: 88
    .language:       OpenCL C
    .language_version:
      - 2
      - 0
    .max_flat_workgroup_size: 117
    .name:           fft_rtc_fwd_len507_factors_13_3_13_wgs_117_tpt_39_halfLds_sp_ip_CI_sbrr_dirReg
    .private_segment_fixed_size: 0
    .sgpr_count:     25
    .sgpr_spill_count: 0
    .symbol:         fft_rtc_fwd_len507_factors_13_3_13_wgs_117_tpt_39_halfLds_sp_ip_CI_sbrr_dirReg.kd
    .uniform_work_group_size: 1
    .uses_dynamic_stack: false
    .vgpr_count:     112
    .vgpr_spill_count: 0
    .wavefront_size: 32
    .workgroup_processor_mode: 1
amdhsa.target:   amdgcn-amd-amdhsa--gfx1030
amdhsa.version:
  - 1
  - 2
...

	.end_amdgpu_metadata
